;; amdgpu-corpus repo=ROCm/rocFFT kind=compiled arch=gfx906 opt=O3
	.text
	.amdgcn_target "amdgcn-amd-amdhsa--gfx906"
	.amdhsa_code_object_version 6
	.protected	fft_rtc_fwd_len891_factors_9_11_3_3_wgs_198_tpt_99_halfLds_sp_ip_CI_sbrr_dirReg ; -- Begin function fft_rtc_fwd_len891_factors_9_11_3_3_wgs_198_tpt_99_halfLds_sp_ip_CI_sbrr_dirReg
	.globl	fft_rtc_fwd_len891_factors_9_11_3_3_wgs_198_tpt_99_halfLds_sp_ip_CI_sbrr_dirReg
	.p2align	8
	.type	fft_rtc_fwd_len891_factors_9_11_3_3_wgs_198_tpt_99_halfLds_sp_ip_CI_sbrr_dirReg,@function
fft_rtc_fwd_len891_factors_9_11_3_3_wgs_198_tpt_99_halfLds_sp_ip_CI_sbrr_dirReg: ; @fft_rtc_fwd_len891_factors_9_11_3_3_wgs_198_tpt_99_halfLds_sp_ip_CI_sbrr_dirReg
; %bb.0:
	s_load_dwordx2 s[14:15], s[4:5], 0x18
	s_load_dwordx4 s[8:11], s[4:5], 0x0
	s_load_dwordx2 s[12:13], s[4:5], 0x50
	v_mul_u32_u24_e32 v1, 0x296, v0
	v_lshrrev_b32_e32 v11, 16, v1
	s_waitcnt lgkmcnt(0)
	s_load_dwordx2 s[2:3], s[14:15], 0x0
	v_cmp_lt_u64_e64 s[0:1], s[10:11], 2
	v_mov_b32_e32 v3, 0
	v_mov_b32_e32 v1, 0
	v_lshl_add_u32 v5, s6, 1, v11
	v_mov_b32_e32 v6, v3
	s_and_b64 vcc, exec, s[0:1]
	v_mov_b32_e32 v2, 0
	s_cbranch_vccnz .LBB0_8
; %bb.1:
	s_load_dwordx2 s[0:1], s[4:5], 0x10
	s_add_u32 s6, s14, 8
	s_addc_u32 s7, s15, 0
	v_mov_b32_e32 v1, 0
	v_mov_b32_e32 v2, 0
	s_waitcnt lgkmcnt(0)
	s_add_u32 s16, s0, 8
	s_addc_u32 s17, s1, 0
	s_mov_b64 s[18:19], 1
.LBB0_2:                                ; =>This Inner Loop Header: Depth=1
	s_load_dwordx2 s[20:21], s[16:17], 0x0
                                        ; implicit-def: $vgpr7_vgpr8
	s_waitcnt lgkmcnt(0)
	v_or_b32_e32 v4, s21, v6
	v_cmp_ne_u64_e32 vcc, 0, v[3:4]
	s_and_saveexec_b64 s[0:1], vcc
	s_xor_b64 s[22:23], exec, s[0:1]
	s_cbranch_execz .LBB0_4
; %bb.3:                                ;   in Loop: Header=BB0_2 Depth=1
	v_cvt_f32_u32_e32 v4, s20
	v_cvt_f32_u32_e32 v7, s21
	s_sub_u32 s0, 0, s20
	s_subb_u32 s1, 0, s21
	v_mac_f32_e32 v4, 0x4f800000, v7
	v_rcp_f32_e32 v4, v4
	v_mul_f32_e32 v4, 0x5f7ffffc, v4
	v_mul_f32_e32 v7, 0x2f800000, v4
	v_trunc_f32_e32 v7, v7
	v_mac_f32_e32 v4, 0xcf800000, v7
	v_cvt_u32_f32_e32 v7, v7
	v_cvt_u32_f32_e32 v4, v4
	v_mul_lo_u32 v8, s0, v7
	v_mul_hi_u32 v9, s0, v4
	v_mul_lo_u32 v12, s1, v4
	v_mul_lo_u32 v10, s0, v4
	v_add_u32_e32 v8, v9, v8
	v_add_u32_e32 v8, v8, v12
	v_mul_hi_u32 v9, v4, v10
	v_mul_lo_u32 v12, v4, v8
	v_mul_hi_u32 v14, v4, v8
	v_mul_hi_u32 v13, v7, v10
	v_mul_lo_u32 v10, v7, v10
	v_mul_hi_u32 v15, v7, v8
	v_add_co_u32_e32 v9, vcc, v9, v12
	v_addc_co_u32_e32 v12, vcc, 0, v14, vcc
	v_mul_lo_u32 v8, v7, v8
	v_add_co_u32_e32 v9, vcc, v9, v10
	v_addc_co_u32_e32 v9, vcc, v12, v13, vcc
	v_addc_co_u32_e32 v10, vcc, 0, v15, vcc
	v_add_co_u32_e32 v8, vcc, v9, v8
	v_addc_co_u32_e32 v9, vcc, 0, v10, vcc
	v_add_co_u32_e32 v4, vcc, v4, v8
	v_addc_co_u32_e32 v7, vcc, v7, v9, vcc
	v_mul_lo_u32 v8, s0, v7
	v_mul_hi_u32 v9, s0, v4
	v_mul_lo_u32 v10, s1, v4
	v_mul_lo_u32 v12, s0, v4
	v_add_u32_e32 v8, v9, v8
	v_add_u32_e32 v8, v8, v10
	v_mul_lo_u32 v13, v4, v8
	v_mul_hi_u32 v14, v4, v12
	v_mul_hi_u32 v15, v4, v8
	v_mul_hi_u32 v10, v7, v12
	v_mul_lo_u32 v12, v7, v12
	v_mul_hi_u32 v9, v7, v8
	v_add_co_u32_e32 v13, vcc, v14, v13
	v_addc_co_u32_e32 v14, vcc, 0, v15, vcc
	v_mul_lo_u32 v8, v7, v8
	v_add_co_u32_e32 v12, vcc, v13, v12
	v_addc_co_u32_e32 v10, vcc, v14, v10, vcc
	v_addc_co_u32_e32 v9, vcc, 0, v9, vcc
	v_add_co_u32_e32 v8, vcc, v10, v8
	v_addc_co_u32_e32 v9, vcc, 0, v9, vcc
	v_add_co_u32_e32 v4, vcc, v4, v8
	v_addc_co_u32_e32 v9, vcc, v7, v9, vcc
	v_mad_u64_u32 v[7:8], s[0:1], v5, v9, 0
	v_mul_hi_u32 v10, v5, v4
	v_add_co_u32_e32 v12, vcc, v10, v7
	v_addc_co_u32_e32 v13, vcc, 0, v8, vcc
	v_mad_u64_u32 v[7:8], s[0:1], v6, v4, 0
	v_mad_u64_u32 v[9:10], s[0:1], v6, v9, 0
	v_add_co_u32_e32 v4, vcc, v12, v7
	v_addc_co_u32_e32 v4, vcc, v13, v8, vcc
	v_addc_co_u32_e32 v7, vcc, 0, v10, vcc
	v_add_co_u32_e32 v4, vcc, v4, v9
	v_addc_co_u32_e32 v9, vcc, 0, v7, vcc
	v_mul_lo_u32 v10, s21, v4
	v_mul_lo_u32 v12, s20, v9
	v_mad_u64_u32 v[7:8], s[0:1], s20, v4, 0
	v_add3_u32 v8, v8, v12, v10
	v_sub_u32_e32 v10, v6, v8
	v_mov_b32_e32 v12, s21
	v_sub_co_u32_e32 v7, vcc, v5, v7
	v_subb_co_u32_e64 v10, s[0:1], v10, v12, vcc
	v_subrev_co_u32_e64 v12, s[0:1], s20, v7
	v_subbrev_co_u32_e64 v10, s[0:1], 0, v10, s[0:1]
	v_cmp_le_u32_e64 s[0:1], s21, v10
	v_cndmask_b32_e64 v13, 0, -1, s[0:1]
	v_cmp_le_u32_e64 s[0:1], s20, v12
	v_cndmask_b32_e64 v12, 0, -1, s[0:1]
	v_cmp_eq_u32_e64 s[0:1], s21, v10
	v_cndmask_b32_e64 v10, v13, v12, s[0:1]
	v_add_co_u32_e64 v12, s[0:1], 2, v4
	v_addc_co_u32_e64 v13, s[0:1], 0, v9, s[0:1]
	v_add_co_u32_e64 v14, s[0:1], 1, v4
	v_addc_co_u32_e64 v15, s[0:1], 0, v9, s[0:1]
	v_subb_co_u32_e32 v8, vcc, v6, v8, vcc
	v_cmp_ne_u32_e64 s[0:1], 0, v10
	v_cmp_le_u32_e32 vcc, s21, v8
	v_cndmask_b32_e64 v10, v15, v13, s[0:1]
	v_cndmask_b32_e64 v13, 0, -1, vcc
	v_cmp_le_u32_e32 vcc, s20, v7
	v_cndmask_b32_e64 v7, 0, -1, vcc
	v_cmp_eq_u32_e32 vcc, s21, v8
	v_cndmask_b32_e32 v7, v13, v7, vcc
	v_cmp_ne_u32_e32 vcc, 0, v7
	v_cndmask_b32_e64 v7, v14, v12, s[0:1]
	v_cndmask_b32_e32 v8, v9, v10, vcc
	v_cndmask_b32_e32 v7, v4, v7, vcc
.LBB0_4:                                ;   in Loop: Header=BB0_2 Depth=1
	s_andn2_saveexec_b64 s[0:1], s[22:23]
	s_cbranch_execz .LBB0_6
; %bb.5:                                ;   in Loop: Header=BB0_2 Depth=1
	v_cvt_f32_u32_e32 v4, s20
	s_sub_i32 s22, 0, s20
	v_rcp_iflag_f32_e32 v4, v4
	v_mul_f32_e32 v4, 0x4f7ffffe, v4
	v_cvt_u32_f32_e32 v4, v4
	v_mul_lo_u32 v7, s22, v4
	v_mul_hi_u32 v7, v4, v7
	v_add_u32_e32 v4, v4, v7
	v_mul_hi_u32 v4, v5, v4
	v_mul_lo_u32 v7, v4, s20
	v_add_u32_e32 v8, 1, v4
	v_sub_u32_e32 v7, v5, v7
	v_subrev_u32_e32 v9, s20, v7
	v_cmp_le_u32_e32 vcc, s20, v7
	v_cndmask_b32_e32 v7, v7, v9, vcc
	v_cndmask_b32_e32 v4, v4, v8, vcc
	v_add_u32_e32 v8, 1, v4
	v_cmp_le_u32_e32 vcc, s20, v7
	v_cndmask_b32_e32 v7, v4, v8, vcc
	v_mov_b32_e32 v8, v3
.LBB0_6:                                ;   in Loop: Header=BB0_2 Depth=1
	s_or_b64 exec, exec, s[0:1]
	v_mul_lo_u32 v4, v8, s20
	v_mul_lo_u32 v12, v7, s21
	v_mad_u64_u32 v[9:10], s[0:1], v7, s20, 0
	s_load_dwordx2 s[0:1], s[6:7], 0x0
	s_add_u32 s18, s18, 1
	v_add3_u32 v4, v10, v12, v4
	v_sub_co_u32_e32 v5, vcc, v5, v9
	v_subb_co_u32_e32 v4, vcc, v6, v4, vcc
	s_waitcnt lgkmcnt(0)
	v_mul_lo_u32 v4, s0, v4
	v_mul_lo_u32 v6, s1, v5
	v_mad_u64_u32 v[1:2], s[0:1], s0, v5, v[1:2]
	s_addc_u32 s19, s19, 0
	s_add_u32 s6, s6, 8
	v_add3_u32 v2, v6, v2, v4
	v_mov_b32_e32 v4, s10
	v_mov_b32_e32 v5, s11
	s_addc_u32 s7, s7, 0
	v_cmp_ge_u64_e32 vcc, s[18:19], v[4:5]
	s_add_u32 s16, s16, 8
	s_addc_u32 s17, s17, 0
	s_cbranch_vccnz .LBB0_9
; %bb.7:                                ;   in Loop: Header=BB0_2 Depth=1
	v_mov_b32_e32 v5, v7
	v_mov_b32_e32 v6, v8
	s_branch .LBB0_2
.LBB0_8:
	v_mov_b32_e32 v8, v6
	v_mov_b32_e32 v7, v5
.LBB0_9:
	s_lshl_b64 s[0:1], s[10:11], 3
	s_add_u32 s0, s14, s0
	s_addc_u32 s1, s15, s1
	s_load_dwordx2 s[6:7], s[0:1], 0x0
	s_load_dwordx2 s[10:11], s[4:5], 0x20
	v_mov_b32_e32 v17, 0
	v_mov_b32_e32 v18, 0
	;; [unrolled: 1-line block ×3, first 2 shown]
	s_waitcnt lgkmcnt(0)
	v_mad_u64_u32 v[1:2], s[0:1], s6, v7, v[1:2]
	s_mov_b32 s0, 0x295fad5
	v_mul_lo_u32 v3, s6, v8
	v_mul_lo_u32 v4, s7, v7
	v_mul_hi_u32 v5, v0, s0
	v_cmp_gt_u64_e32 vcc, s[10:11], v[7:8]
	v_mov_b32_e32 v26, v18
	v_add3_u32 v2, v4, v2, v3
	v_mul_u32_u24_e32 v3, 0x63, v5
	v_sub_u32_e32 v29, v0, v3
	v_lshlrev_b64 v[0:1], 3, v[1:2]
	v_mov_b32_e32 v15, v17
	v_mov_b32_e32 v23, v17
	;; [unrolled: 1-line block ×4, first 2 shown]
                                        ; implicit-def: $vgpr10
                                        ; implicit-def: $vgpr14
                                        ; implicit-def: $vgpr28
                                        ; implicit-def: $vgpr22
                                        ; implicit-def: $vgpr20
	s_and_saveexec_b64 s[4:5], vcc
	s_cbranch_execz .LBB0_11
; %bb.10:
	v_mad_u64_u32 v[2:3], s[0:1], s2, v29, 0
	v_add_u32_e32 v7, 0x63, v29
	v_mov_b32_e32 v6, s13
	v_mad_u64_u32 v[3:4], s[0:1], s3, v29, v[3:4]
	v_mad_u64_u32 v[4:5], s[0:1], s2, v7, 0
	v_add_co_u32_e64 v18, s[0:1], s12, v0
	v_addc_co_u32_e64 v19, s[0:1], v6, v1, s[0:1]
	v_mad_u64_u32 v[5:6], s[0:1], s3, v7, v[5:6]
	v_add_u32_e32 v8, 0xc6, v29
	v_mad_u64_u32 v[6:7], s[0:1], s2, v8, 0
	v_lshlrev_b64 v[2:3], 3, v[2:3]
	v_lshlrev_b64 v[4:5], 3, v[4:5]
	v_add_co_u32_e64 v2, s[0:1], v18, v2
	v_addc_co_u32_e64 v3, s[0:1], v19, v3, s[0:1]
	v_mad_u64_u32 v[7:8], s[0:1], s3, v8, v[7:8]
	v_add_u32_e32 v10, 0x129, v29
	v_mad_u64_u32 v[8:9], s[0:1], s2, v10, 0
	v_add_co_u32_e64 v4, s[0:1], v18, v4
	v_add_u32_e32 v14, 0x18c, v29
	v_addc_co_u32_e64 v5, s[0:1], v19, v5, s[0:1]
	v_mad_u64_u32 v[12:13], s[0:1], s2, v14, 0
	v_lshlrev_b64 v[6:7], 3, v[6:7]
	v_mad_u64_u32 v[9:10], s[0:1], s3, v10, v[9:10]
	v_add_co_u32_e64 v6, s[0:1], v18, v6
	v_mov_b32_e32 v10, v13
	v_addc_co_u32_e64 v7, s[0:1], v19, v7, s[0:1]
	v_mad_u64_u32 v[13:14], s[0:1], s3, v14, v[10:11]
	v_add_u32_e32 v16, 0x1ef, v29
	v_mad_u64_u32 v[14:15], s[0:1], s2, v16, 0
	v_lshlrev_b64 v[8:9], 3, v[8:9]
	v_add_co_u32_e64 v30, s[0:1], v18, v8
	v_mov_b32_e32 v10, v15
	v_addc_co_u32_e64 v31, s[0:1], v19, v9, s[0:1]
	v_lshlrev_b64 v[8:9], 3, v[12:13]
	v_mad_u64_u32 v[12:13], s[0:1], s3, v16, v[10:11]
	v_add_u32_e32 v13, 0x252, v29
	v_mad_u64_u32 v[16:17], s[0:1], s2, v13, 0
	v_add_co_u32_e64 v32, s[0:1], v18, v8
	v_mov_b32_e32 v15, v12
	v_mov_b32_e32 v10, v17
	v_addc_co_u32_e64 v33, s[0:1], v19, v9, s[0:1]
	v_lshlrev_b64 v[8:9], 3, v[14:15]
	v_mad_u64_u32 v[12:13], s[0:1], s3, v13, v[10:11]
	v_add_u32_e32 v15, 0x2b5, v29
	v_mad_u64_u32 v[13:14], s[0:1], s2, v15, 0
	v_add_co_u32_e64 v34, s[0:1], v18, v8
	v_mov_b32_e32 v10, v14
	v_addc_co_u32_e64 v35, s[0:1], v19, v9, s[0:1]
	v_mov_b32_e32 v17, v12
	v_mad_u64_u32 v[14:15], s[0:1], s3, v15, v[10:11]
	v_add_u32_e32 v12, 0x318, v29
	v_lshlrev_b64 v[8:9], 3, v[16:17]
	v_mad_u64_u32 v[15:16], s[0:1], s2, v12, 0
	v_add_co_u32_e64 v36, s[0:1], v18, v8
	v_mov_b32_e32 v10, v16
	v_addc_co_u32_e64 v37, s[0:1], v19, v9, s[0:1]
	v_lshlrev_b64 v[8:9], 3, v[13:14]
	v_mad_u64_u32 v[12:13], s[0:1], s3, v12, v[10:11]
	v_add_co_u32_e64 v38, s[0:1], v18, v8
	v_mov_b32_e32 v16, v12
	v_addc_co_u32_e64 v39, s[0:1], v19, v9, s[0:1]
	v_lshlrev_b64 v[8:9], 3, v[15:16]
	v_add_co_u32_e64 v40, s[0:1], v18, v8
	v_addc_co_u32_e64 v41, s[0:1], v19, v9, s[0:1]
	global_load_dwordx2 v[9:10], v[2:3], off
	global_load_dwordx2 v[17:18], v[4:5], off
	;; [unrolled: 1-line block ×9, first 2 shown]
.LBB0_11:
	s_or_b64 exec, exec, s[4:5]
	s_waitcnt vmcnt(1)
	v_sub_f32_e32 v8, v24, v22
	v_sub_f32_e32 v30, v16, v14
	s_waitcnt vmcnt(0)
	v_add_f32_e32 v32, v27, v17
	v_mov_b32_e32 v3, v9
	v_add_f32_e32 v35, v13, v15
	v_mov_b32_e32 v5, v9
	v_sub_f32_e32 v7, v18, v28
	v_mul_f32_e32 v2, 0x3f7c1c5c, v8
	v_fmac_f32_e32 v3, 0x3f441b7d, v32
	v_add_f32_e32 v33, v21, v23
	v_mul_f32_e32 v6, 0xbf248dbb, v30
	v_fmac_f32_e32 v5, 0x3f441b7d, v35
	v_sub_f32_e32 v12, v26, v20
	v_fmac_f32_e32 v2, 0x3f248dbb, v7
	v_fmac_f32_e32 v3, 0x3e31d0d4, v33
	v_add_f32_e32 v34, v19, v25
	v_fmac_f32_e32 v6, 0x3f7c1c5c, v7
	v_fmac_f32_e32 v5, 0x3e31d0d4, v32
	;; [unrolled: 1-line block ×3, first 2 shown]
	v_fmac_f32_e32 v3, -0.5, v34
	v_fmac_f32_e32 v6, 0xbf5db3d7, v12
	v_fmac_f32_e32 v5, -0.5, v34
	v_fmac_f32_e32 v2, 0x3eaf1d44, v30
	v_fmac_f32_e32 v3, 0xbf708fb2, v35
	;; [unrolled: 1-line block ×4, first 2 shown]
	v_add_f32_e32 v4, v3, v2
	v_add_f32_e32 v5, v6, v5
	;; [unrolled: 1-line block ×3, first 2 shown]
	v_fma_f32 v3, -2.0, v2, v4
	v_fma_f32 v2, -2.0, v6, v5
	v_add_f32_e32 v36, v31, v35
	v_add_f32_e32 v6, v9, v34
	v_fmac_f32_e32 v6, -0.5, v36
	s_mov_b32 s6, 0xbf248dbb
	v_add_f32_e32 v36, v7, v30
	v_mul_f32_e32 v30, 0x3f7c1c5c, v30
	v_sub_f32_e32 v36, v36, v8
	v_fma_f32 v8, v8, s6, -v30
	v_fmac_f32_e32 v8, 0x3f5db3d7, v12
	v_fmac_f32_e32 v8, 0x3eaf1d44, v7
	v_add_f32_e32 v7, v31, v34
	v_add_f32_e32 v7, v7, v15
	;; [unrolled: 1-line block ×4, first 2 shown]
	v_fmac_f32_e32 v9, 0x3f441b7d, v33
	v_fmac_f32_e32 v9, 0x3e31d0d4, v35
	v_fmac_f32_e32 v9, -0.5, v34
	v_fmac_f32_e32 v9, 0xbf708fb2, v32
	v_fmac_f32_e32 v6, 0x3f5db3d7, v36
	v_mul_f32_e32 v12, 0x3f5db3d7, v36
	v_and_b32_e32 v11, 1, v11
	v_add_f32_e32 v7, v9, v8
	v_fma_f32 v9, -2.0, v12, v6
	v_mov_b32_e32 v12, 0x37b
	v_cmp_eq_u32_e64 s[0:1], 1, v11
	v_cndmask_b32_e64 v11, 0, v12, s[0:1]
	v_mad_u32_u24 v33, v29, 36, 0
	s_movk_i32 s0, 0x51
	v_fma_f32 v8, -2.0, v8, v7
	v_lshl_add_u32 v35, v11, 2, v33
	v_cmp_gt_u32_e64 s[0:1], s0, v29
	v_lshlrev_b32_e32 v30, 2, v11
	v_lshlrev_b32_e32 v32, 2, v29
	;; [unrolled: 1-line block ×3, first 2 shown]
	ds_write2_b32 v35, v31, v4 offset1:1
	ds_write2_b32 v35, v5, v6 offset0:2 offset1:3
	ds_write2_b32 v35, v7, v8 offset0:4 offset1:5
	ds_write2_b32 v35, v9, v2 offset0:6 offset1:7
	ds_write_b32 v35, v3 offset:32
	s_waitcnt lgkmcnt(0)
	s_barrier
	s_waitcnt lgkmcnt(0)
                                        ; implicit-def: $vgpr12
	s_and_saveexec_b64 s[4:5], s[0:1]
	s_cbranch_execz .LBB0_13
; %bb.12:
	v_add3_u32 v2, 0, v30, v32
	ds_read_b32 v31, v2
	v_sub_u32_e32 v2, v33, v34
	v_add_u32_e32 v11, v2, v30
	v_add_u32_e32 v2, 0x200, v11
	ds_read2_b32 v[6:7], v2 offset0:115 offset1:196
	v_add_u32_e32 v2, 0x400, v11
	ds_read2_b32 v[4:5], v11 offset0:81 offset1:162
	ds_read2_b32 v[8:9], v2 offset0:149 offset1:230
	v_add_u32_e32 v2, 0x800, v11
	v_add_u32_e32 v11, 0xa00, v11
	ds_read2_b32 v[2:3], v2 offset0:55 offset1:136
	ds_read2_b32 v[11:12], v11 offset0:89 offset1:170
.LBB0_13:
	s_or_b64 exec, exec, s[4:5]
	v_add_f32_e32 v28, v28, v18
	v_sub_f32_e32 v21, v23, v21
	v_sub_f32_e32 v15, v15, v13
	v_mov_b32_e32 v13, v10
	v_add_f32_e32 v36, v22, v24
	v_sub_f32_e32 v24, v17, v27
	v_mul_f32_e32 v17, 0x3f7c1c5c, v21
	v_fmac_f32_e32 v13, 0x3f441b7d, v28
	v_add_f32_e32 v26, v20, v26
	v_sub_f32_e32 v23, v25, v19
	v_fmac_f32_e32 v17, 0x3f248dbb, v24
	v_fmac_f32_e32 v13, 0x3e31d0d4, v36
	;; [unrolled: 1-line block ×3, first 2 shown]
	v_fmac_f32_e32 v13, -0.5, v26
	v_add_f32_e32 v25, v14, v16
	v_fmac_f32_e32 v17, 0x3eaf1d44, v15
	v_fmac_f32_e32 v13, 0xbf708fb2, v25
	v_sub_f32_e32 v19, v13, v17
	v_fma_f32 v18, 2.0, v17, v19
	v_mov_b32_e32 v17, v10
	v_mul_f32_e32 v13, 0xbf248dbb, v15
	v_fmac_f32_e32 v17, 0x3f441b7d, v25
	v_fmac_f32_e32 v13, 0x3f7c1c5c, v24
	v_fmac_f32_e32 v17, 0x3e31d0d4, v28
	v_fmac_f32_e32 v13, 0xbf5db3d7, v23
	v_fmac_f32_e32 v17, -0.5, v26
	v_fmac_f32_e32 v13, 0x3eaf1d44, v21
	v_fmac_f32_e32 v17, 0xbf708fb2, v36
	v_sub_f32_e32 v20, v17, v13
	v_fma_f32 v17, 2.0, v13, v20
	v_add_f32_e32 v13, v24, v15
	v_add_f32_e32 v37, v28, v36
	v_mul_f32_e32 v15, 0x3f7c1c5c, v15
	v_sub_f32_e32 v22, v13, v21
	v_fma_f32 v15, v21, s6, -v15
	v_add_f32_e32 v21, v37, v26
	v_add_f32_e32 v16, v21, v16
	v_fmac_f32_e32 v15, 0x3f5db3d7, v23
	v_add_f32_e32 v14, v14, v16
	v_add_f32_e32 v13, v10, v26
	v_fmac_f32_e32 v15, 0x3eaf1d44, v24
	v_add_f32_e32 v24, v10, v14
	v_fmac_f32_e32 v10, 0x3f441b7d, v36
	v_fmac_f32_e32 v10, 0x3e31d0d4, v25
	v_add_f32_e32 v38, v37, v25
	v_fmac_f32_e32 v10, -0.5, v26
	v_fmac_f32_e32 v13, -0.5, v38
	v_fmac_f32_e32 v10, 0xbf708fb2, v28
	v_mul_f32_e32 v27, 0x3f5db3d7, v22
	v_fmac_f32_e32 v13, 0xbf5db3d7, v22
	v_sub_f32_e32 v14, v10, v15
	v_fma_f32 v22, 2.0, v27, v13
	v_fma_f32 v21, 2.0, v15, v14
	s_waitcnt lgkmcnt(0)
	s_barrier
	ds_write2_b32 v35, v24, v19 offset1:1
	ds_write2_b32 v35, v20, v13 offset0:2 offset1:3
	ds_write2_b32 v35, v14, v21 offset0:4 offset1:5
	;; [unrolled: 1-line block ×3, first 2 shown]
	ds_write_b32 v35, v18 offset:32
	s_waitcnt lgkmcnt(0)
	s_barrier
	s_waitcnt lgkmcnt(0)
                                        ; implicit-def: $vgpr16
	s_and_saveexec_b64 s[4:5], s[0:1]
	s_cbranch_execz .LBB0_15
; %bb.14:
	v_add3_u32 v10, 0, v30, v32
	ds_read_b32 v24, v10
	v_sub_u32_e32 v10, v33, v34
	v_add_u32_e32 v10, v10, v30
	v_add_u32_e32 v15, 0x400, v10
	ds_read2_b32 v[19:20], v10 offset0:81 offset1:162
	v_add_u32_e32 v13, 0x200, v10
	ds_read2_b32 v[21:22], v15 offset0:149 offset1:230
	v_add_u32_e32 v15, 0x800, v10
	v_add_u32_e32 v10, 0xa00, v10
	ds_read2_b32 v[13:14], v13 offset0:115 offset1:196
	ds_read2_b32 v[17:18], v15 offset0:55 offset1:136
	;; [unrolled: 1-line block ×3, first 2 shown]
.LBB0_15:
	s_or_b64 exec, exec, s[4:5]
	v_mov_b32_e32 v10, 57
	v_mul_lo_u16_sdwa v10, v29, v10 dst_sel:DWORD dst_unused:UNUSED_PAD src0_sel:BYTE_0 src1_sel:DWORD
	v_lshrrev_b16_e32 v10, 9, v10
	v_mul_lo_u16_e32 v23, 9, v10
	v_sub_u16_e32 v23, v29, v23
	v_mov_b32_e32 v25, 10
	v_mul_u32_u24_sdwa v25, v23, v25 dst_sel:DWORD dst_unused:UNUSED_PAD src0_sel:BYTE_0 src1_sel:DWORD
	v_lshlrev_b32_e32 v25, 3, v25
	global_load_dwordx4 v[42:45], v25, s[8:9]
	global_load_dwordx4 v[46:49], v25, s[8:9] offset:16
	global_load_dwordx4 v[50:53], v25, s[8:9] offset:32
	;; [unrolled: 1-line block ×4, first 2 shown]
	s_waitcnt vmcnt(0) lgkmcnt(0)
	s_barrier
	v_mul_f32_e32 v33, v19, v43
	v_mul_f32_e32 v40, v4, v43
	;; [unrolled: 1-line block ×17, first 2 shown]
	v_fma_f32 v41, v4, v42, -v33
	v_mul_f32_e32 v39, v11, v59
	v_mul_f32_e32 v4, v16, v61
	v_fmac_f32_e32 v40, v19, v42
	v_mul_f32_e32 v42, v12, v61
	v_fma_f32 v38, v5, v44, -v36
	v_fmac_f32_e32 v37, v20, v44
	v_fma_f32 v36, v6, v46, -v43
	v_fmac_f32_e32 v34, v13, v46
	;; [unrolled: 2-line block ×5, first 2 shown]
	v_fma_f32 v21, v2, v54, -v51
	v_fma_f32 v22, v3, v56, -v53
	v_fmac_f32_e32 v28, v17, v54
	v_fmac_f32_e32 v35, v18, v56
	v_fma_f32 v11, v11, v58, -v55
	v_fmac_f32_e32 v39, v15, v58
	v_fma_f32 v43, v12, v60, -v4
	v_fmac_f32_e32 v42, v16, v60
	s_and_saveexec_b64 s[4:5], s[0:1]
	s_cbranch_execz .LBB0_17
; %bb.16:
	v_sub_f32_e32 v3, v40, v42
	v_mul_f32_e32 v4, 0xbe903f40, v3
	v_sub_f32_e32 v7, v37, v39
	v_add_f32_e32 v2, v41, v43
	v_mov_b32_e32 v5, v4
	v_mul_f32_e32 v12, 0x3f0a6770, v7
	v_fmac_f32_e32 v5, 0xbf75a155, v2
	v_add_f32_e32 v6, v38, v11
	v_mov_b32_e32 v13, v12
	v_sub_f32_e32 v14, v34, v35
	v_add_f32_e32 v5, v31, v5
	v_fmac_f32_e32 v13, 0x3f575c64, v6
	v_mul_f32_e32 v15, 0xbf4178ce, v14
	s_mov_b32 s7, 0xbf75a155
	v_add_f32_e32 v5, v13, v5
	v_add_f32_e32 v13, v36, v22
	v_mov_b32_e32 v16, v15
	v_sub_f32_e32 v17, v27, v28
	s_mov_b32 s10, 0x3f575c64
	v_fma_f32 v4, v2, s7, -v4
	v_fmac_f32_e32 v16, 0xbf27a4f4, v13
	v_mul_f32_e32 v18, 0x3f68dda4, v17
	v_add_f32_e32 v4, v31, v4
	v_fma_f32 v12, v6, s10, -v12
	s_mov_b32 s11, 0xbf27a4f4
	v_add_f32_e32 v5, v16, v5
	v_add_f32_e32 v16, v33, v21
	v_mov_b32_e32 v19, v18
	v_add_f32_e32 v4, v12, v4
	v_fma_f32 v12, v13, s11, -v15
	s_mov_b32 s14, 0x3ed4b147
	v_fmac_f32_e32 v19, 0x3ed4b147, v16
	v_sub_f32_e32 v20, v25, v26
	v_add_f32_e32 v4, v12, v4
	v_fma_f32 v12, v16, s14, -v18
	v_add_f32_e32 v5, v19, v5
	s_mov_b32 s6, 0xbe11bafb
	v_add_f32_e32 v19, v8, v9
	v_mul_f32_e32 v44, 0xbf7d64f0, v20
	v_add_f32_e32 v4, v12, v4
	v_mul_f32_e32 v12, 0xbf4178ce, v3
	v_fma_f32 v45, v19, s6, -v44
	v_fmac_f32_e32 v44, 0xbe11bafb, v19
	v_mov_b32_e32 v15, v12
	v_mul_f32_e32 v18, 0x3f7d64f0, v7
	v_add_f32_e32 v5, v44, v5
	v_fmac_f32_e32 v15, 0xbf27a4f4, v2
	v_mov_b32_e32 v44, v18
	v_add_f32_e32 v15, v31, v15
	v_fmac_f32_e32 v44, 0xbe11bafb, v6
	v_add_f32_e32 v15, v44, v15
	v_mul_f32_e32 v44, 0xbf0a6770, v14
	v_add_f32_e32 v4, v45, v4
	v_mov_b32_e32 v45, v44
	v_fmac_f32_e32 v45, 0x3f575c64, v13
	v_add_f32_e32 v15, v45, v15
	v_mul_f32_e32 v45, 0xbe903f40, v17
	v_fma_f32 v12, v2, s11, -v12
	v_fma_f32 v46, v16, s7, -v45
	v_fmac_f32_e32 v45, 0xbf75a155, v16
	v_add_f32_e32 v12, v31, v12
	v_fma_f32 v18, v6, s6, -v18
	v_add_f32_e32 v15, v45, v15
	v_mul_f32_e32 v45, 0x3f68dda4, v20
	v_add_f32_e32 v12, v18, v12
	v_fma_f32 v18, v13, s10, -v44
	v_fma_f32 v47, v19, s14, -v45
	v_fmac_f32_e32 v45, 0x3ed4b147, v19
	v_add_f32_e32 v12, v18, v12
	v_mul_f32_e32 v18, 0xbf7d64f0, v3
	v_add_f32_e32 v15, v45, v15
	v_mov_b32_e32 v44, v18
	v_mul_f32_e32 v45, 0x3e903f40, v7
	v_add_f32_e32 v12, v46, v12
	v_fmac_f32_e32 v44, 0xbe11bafb, v2
	v_mov_b32_e32 v46, v45
	v_add_f32_e32 v44, v31, v44
	v_fmac_f32_e32 v46, 0xbf75a155, v6
	v_add_f32_e32 v44, v46, v44
	v_mul_f32_e32 v46, 0x3f68dda4, v14
	v_add_f32_e32 v12, v47, v12
	v_mov_b32_e32 v47, v46
	v_fmac_f32_e32 v47, 0x3ed4b147, v13
	v_add_f32_e32 v44, v47, v44
	v_mul_f32_e32 v47, 0xbf0a6770, v17
	v_fma_f32 v18, v2, s6, -v18
	v_fma_f32 v48, v16, s10, -v47
	v_fmac_f32_e32 v47, 0x3f575c64, v16
	v_add_f32_e32 v18, v31, v18
	v_fma_f32 v45, v6, s7, -v45
	v_add_f32_e32 v44, v47, v44
	v_mul_f32_e32 v47, 0xbf4178ce, v20
	v_add_f32_e32 v18, v45, v18
	v_fma_f32 v45, v13, s14, -v46
	v_fma_f32 v49, v19, s11, -v47
	v_fmac_f32_e32 v47, 0xbf27a4f4, v19
	v_add_f32_e32 v18, v45, v18
	v_mul_f32_e32 v45, 0xbf68dda4, v3
	v_add_f32_e32 v44, v47, v44
	v_mov_b32_e32 v46, v45
	v_mul_f32_e32 v47, 0xbf4178ce, v7
	v_add_f32_e32 v18, v48, v18
	v_fmac_f32_e32 v46, 0x3ed4b147, v2
	v_mov_b32_e32 v48, v47
	v_add_f32_e32 v46, v31, v46
	v_fmac_f32_e32 v48, 0xbf27a4f4, v6
	v_fma_f32 v45, v2, s14, -v45
	v_add_f32_e32 v46, v48, v46
	v_mul_f32_e32 v48, 0x3e903f40, v14
	v_add_f32_e32 v45, v31, v45
	v_fma_f32 v47, v6, s11, -v47
	v_add_f32_e32 v45, v47, v45
	v_fma_f32 v47, v13, s7, -v48
	v_mul_f32_e32 v3, 0xbf0a6770, v3
	v_add_f32_e32 v18, v49, v18
	v_mov_b32_e32 v49, v48
	v_add_f32_e32 v45, v47, v45
	v_mov_b32_e32 v47, v3
	v_fmac_f32_e32 v49, 0xbf75a155, v13
	v_fmac_f32_e32 v47, 0x3f575c64, v2
	v_mul_f32_e32 v7, 0xbf68dda4, v7
	v_fma_f32 v2, v2, s10, -v3
	v_add_f32_e32 v46, v49, v46
	v_mul_f32_e32 v49, 0x3f7d64f0, v17
	v_mul_f32_e32 v14, 0xbf7d64f0, v14
	v_fma_f32 v3, v6, s14, -v7
	v_add_f32_e32 v2, v31, v2
	v_fma_f32 v50, v16, s6, -v49
	v_fmac_f32_e32 v49, 0xbe11bafb, v16
	v_mul_f32_e32 v17, 0xbf4178ce, v17
	v_add_f32_e32 v2, v3, v2
	v_fma_f32 v3, v13, s6, -v14
	v_add_f32_e32 v46, v49, v46
	v_mul_f32_e32 v49, 0x3f0a6770, v20
	v_mul_f32_e32 v20, 0xbe903f40, v20
	v_add_f32_e32 v2, v3, v2
	v_fma_f32 v3, v16, s11, -v17
	v_add_f32_e32 v2, v3, v2
	v_fma_f32 v3, v19, s7, -v20
	v_add_f32_e32 v2, v3, v2
	v_add_f32_e32 v3, v31, v41
	;; [unrolled: 1-line block ×3, first 2 shown]
	v_mov_b32_e32 v48, v7
	v_add_f32_e32 v3, v3, v36
	v_add_f32_e32 v47, v31, v47
	v_fmac_f32_e32 v48, 0x3ed4b147, v6
	v_add_f32_e32 v3, v3, v33
	v_add_f32_e32 v47, v48, v47
	v_mov_b32_e32 v48, v14
	v_add_f32_e32 v3, v3, v8
	v_fmac_f32_e32 v48, 0xbe11bafb, v13
	v_add_f32_e32 v3, v3, v9
	v_add_f32_e32 v47, v48, v47
	v_mov_b32_e32 v48, v17
	v_add_f32_e32 v3, v3, v21
	v_fmac_f32_e32 v48, 0xbf27a4f4, v16
	v_add_f32_e32 v3, v3, v22
	s_movk_i32 s6, 0x18c
	v_mov_b32_e32 v7, 2
	v_add_f32_e32 v47, v48, v47
	v_mov_b32_e32 v48, v20
	v_add_f32_e32 v3, v3, v11
	v_mad_u32_u24 v6, v10, s6, 0
	v_lshlrev_b32_sdwa v7, v7, v23 dst_sel:DWORD dst_unused:UNUSED_PAD src0_sel:DWORD src1_sel:BYTE_0
	v_fma_f32 v51, v19, s10, -v49
	v_fmac_f32_e32 v49, 0x3f575c64, v19
	v_add_f32_e32 v45, v50, v45
	v_fmac_f32_e32 v48, 0xbf75a155, v19
	v_add_f32_e32 v3, v3, v43
	v_add3_u32 v6, v6, v7, v30
	v_add_f32_e32 v46, v49, v46
	v_add_f32_e32 v45, v51, v45
	;; [unrolled: 1-line block ×3, first 2 shown]
	ds_write2_b32 v6, v3, v2 offset1:9
	ds_write2_b32 v6, v45, v18 offset0:18 offset1:27
	ds_write2_b32 v6, v12, v4 offset0:36 offset1:45
	;; [unrolled: 1-line block ×4, first 2 shown]
	ds_write_b32 v6, v47 offset:360
.LBB0_17:
	s_or_b64 exec, exec, s[4:5]
	v_add3_u32 v15, 0, v32, v30
	v_add3_u32 v14, 0, v30, v32
	v_add_u32_e32 v17, 0x400, v15
	v_add_u32_e32 v18, 0x600, v15
	;; [unrolled: 1-line block ×3, first 2 shown]
	s_waitcnt lgkmcnt(0)
	s_barrier
	ds_read_b32 v20, v14
	ds_read2_b32 v[12:13], v17 offset0:41 offset1:140
	ds_read2_b32 v[4:5], v18 offset0:111 offset1:210
	ds_read2_b32 v[2:3], v15 offset0:99 offset1:198
	ds_read2_b32 v[6:7], v19 offset0:53 offset1:152
	s_waitcnt lgkmcnt(0)
	s_barrier
	s_and_saveexec_b64 s[4:5], s[0:1]
	s_cbranch_execz .LBB0_19
; %bb.18:
	v_add_f32_e32 v16, v24, v40
	v_add_f32_e32 v16, v16, v37
	;; [unrolled: 1-line block ×9, first 2 shown]
	v_sub_f32_e32 v32, v41, v43
	v_add_f32_e32 v16, v16, v42
	v_add_f32_e32 v31, v40, v42
	v_mul_f32_e32 v40, 0xbf0a6770, v32
	v_mul_f32_e32 v42, 0xbf68dda4, v32
	;; [unrolled: 1-line block ×5, first 2 shown]
	s_mov_b32 s0, 0x3f575c64
	s_mov_b32 s1, 0x3ed4b147
	;; [unrolled: 1-line block ×5, first 2 shown]
	v_mov_b32_e32 v48, v32
	v_fma_f32 v41, v31, s0, -v40
	v_fmac_f32_e32 v40, 0x3f575c64, v31
	v_fma_f32 v43, v31, s1, -v42
	v_fmac_f32_e32 v42, 0x3ed4b147, v31
	;; [unrolled: 2-line block ×4, first 2 shown]
	v_fmac_f32_e32 v48, 0xbf75a155, v31
	v_fma_f32 v31, v31, s10, -v32
	v_sub_f32_e32 v11, v38, v11
	v_add_f32_e32 v40, v24, v40
	v_add_f32_e32 v41, v24, v41
	;; [unrolled: 1-line block ×11, first 2 shown]
	v_mul_f32_e32 v32, 0xbf68dda4, v11
	v_fma_f32 v37, v31, s1, -v32
	v_fmac_f32_e32 v32, 0x3ed4b147, v31
	v_mul_f32_e32 v38, 0xbf4178ce, v11
	v_add_f32_e32 v32, v32, v40
	v_fma_f32 v39, v31, s7, -v38
	v_fmac_f32_e32 v38, 0xbf27a4f4, v31
	v_mul_f32_e32 v40, 0x3e903f40, v11
	v_add_f32_e32 v37, v37, v41
	v_add_f32_e32 v38, v38, v42
	v_fma_f32 v41, v31, s10, -v40
	v_fmac_f32_e32 v40, 0xbf75a155, v31
	v_mul_f32_e32 v42, 0x3f7d64f0, v11
	v_mul_f32_e32 v11, 0x3f0a6770, v11
	v_add_f32_e32 v40, v40, v44
	v_mov_b32_e32 v44, v11
	v_fma_f32 v11, v31, s0, -v11
	v_sub_f32_e32 v22, v36, v22
	v_add_f32_e32 v39, v39, v43
	v_fma_f32 v43, v31, s6, -v42
	v_fmac_f32_e32 v42, 0xbe11bafb, v31
	v_fmac_f32_e32 v44, 0x3f575c64, v31
	v_add_f32_e32 v11, v11, v24
	v_add_f32_e32 v24, v34, v35
	v_mul_f32_e32 v31, 0xbf7d64f0, v22
	v_fma_f32 v34, v24, s6, -v31
	v_fmac_f32_e32 v31, 0xbe11bafb, v24
	v_add_f32_e32 v31, v31, v32
	v_add_f32_e32 v32, v34, v37
	v_mul_f32_e32 v34, 0x3e903f40, v22
	v_fma_f32 v35, v24, s10, -v34
	v_fmac_f32_e32 v34, 0xbf75a155, v24
	v_mul_f32_e32 v36, 0x3f68dda4, v22
	v_add_f32_e32 v34, v34, v38
	v_fma_f32 v37, v24, s1, -v36
	v_fmac_f32_e32 v36, 0x3ed4b147, v24
	v_mul_f32_e32 v38, 0xbf0a6770, v22
	v_mul_f32_e32 v22, 0xbf4178ce, v22
	v_add_f32_e32 v36, v36, v40
	v_mov_b32_e32 v40, v22
	v_fma_f32 v22, v24, s7, -v22
	v_sub_f32_e32 v21, v33, v21
	v_add_f32_e32 v35, v35, v39
	v_fma_f32 v39, v24, s0, -v38
	v_fmac_f32_e32 v38, 0x3f575c64, v24
	v_fmac_f32_e32 v40, 0xbf27a4f4, v24
	v_add_f32_e32 v11, v22, v11
	v_add_f32_e32 v22, v27, v28
	v_mul_f32_e32 v24, 0xbf4178ce, v21
	v_fma_f32 v27, v22, s7, -v24
	v_fmac_f32_e32 v24, 0xbf27a4f4, v22
	v_mul_f32_e32 v28, 0x3f7d64f0, v21
	v_add_f32_e32 v24, v24, v31
	v_add_f32_e32 v27, v27, v32
	v_fma_f32 v31, v22, s6, -v28
	v_fmac_f32_e32 v28, 0xbe11bafb, v22
	v_mul_f32_e32 v32, 0xbf0a6770, v21
	v_add_f32_e32 v28, v28, v34
	v_fma_f32 v33, v22, s0, -v32
	v_fmac_f32_e32 v32, 0x3f575c64, v22
	v_mul_f32_e32 v34, 0xbe903f40, v21
	v_mul_f32_e32 v21, 0x3f68dda4, v21
	v_add_f32_e32 v32, v32, v36
	v_mov_b32_e32 v36, v21
	v_fma_f32 v21, v22, s1, -v21
	v_sub_f32_e32 v8, v8, v9
	v_add_f32_e32 v11, v21, v11
	v_add_f32_e32 v21, v25, v26
	v_mul_f32_e32 v9, 0xbe903f40, v8
	v_add_f32_e32 v31, v31, v35
	v_fma_f32 v35, v22, s10, -v34
	v_fmac_f32_e32 v34, 0xbf75a155, v22
	v_fmac_f32_e32 v36, 0x3ed4b147, v22
	v_fma_f32 v22, v21, s10, -v9
	v_fmac_f32_e32 v9, 0xbf75a155, v21
	v_add_f32_e32 v9, v9, v24
	v_mul_f32_e32 v24, 0x3f0a6770, v8
	v_fma_f32 v25, v21, s0, -v24
	v_fmac_f32_e32 v24, 0x3f575c64, v21
	v_mul_f32_e32 v26, 0xbf4178ce, v8
	v_add_f32_e32 v22, v22, v27
	v_add_f32_e32 v24, v24, v28
	v_fma_f32 v27, v21, s7, -v26
	v_fmac_f32_e32 v26, 0xbf27a4f4, v21
	v_mul_f32_e32 v28, 0x3f68dda4, v8
	v_mul_f32_e32 v8, 0xbf7d64f0, v8
	v_add_f32_e32 v26, v26, v32
	v_mov_b32_e32 v32, v8
	v_fma_f32 v8, v21, s6, -v8
	v_add_f32_e32 v41, v41, v45
	v_add_f32_e32 v42, v42, v46
	v_add_f32_e32 v43, v43, v47
	v_add_f32_e32 v44, v44, v48
	v_add_f32_e32 v8, v8, v11
	s_movk_i32 s0, 0x18c
	v_mov_b32_e32 v11, 2
	v_add_f32_e32 v37, v37, v41
	v_add_f32_e32 v38, v38, v42
	;; [unrolled: 1-line block ×4, first 2 shown]
	v_mad_u32_u24 v10, v10, s0, 0
	v_lshlrev_b32_sdwa v11, v11, v23 dst_sel:DWORD dst_unused:UNUSED_PAD src0_sel:DWORD src1_sel:BYTE_0
	v_add_f32_e32 v33, v33, v37
	v_add_f32_e32 v34, v34, v38
	v_add_f32_e32 v35, v35, v39
	v_add_f32_e32 v36, v36, v40
	v_add_f32_e32 v25, v25, v31
	v_fma_f32 v31, v21, s1, -v28
	v_fmac_f32_e32 v28, 0x3ed4b147, v21
	v_fmac_f32_e32 v32, 0xbe11bafb, v21
	v_add3_u32 v10, v10, v11, v30
	v_add_f32_e32 v27, v27, v33
	v_add_f32_e32 v28, v28, v34
	;; [unrolled: 1-line block ×4, first 2 shown]
	ds_write2_b32 v10, v16, v9 offset1:9
	ds_write2_b32 v10, v24, v26 offset0:18 offset1:27
	ds_write2_b32 v10, v28, v32 offset0:36 offset1:45
	;; [unrolled: 1-line block ×4, first 2 shown]
	ds_write_b32 v10, v22 offset:360
.LBB0_19:
	s_or_b64 exec, exec, s[4:5]
	v_lshlrev_b32_e32 v8, 1, v29
	v_mov_b32_e32 v9, 0
	v_lshlrev_b64 v[10:11], 3, v[8:9]
	v_mov_b32_e32 v8, s9
	v_add_co_u32_e64 v10, s[0:1], s8, v10
	v_addc_co_u32_e64 v11, s[0:1], v8, v11, s[0:1]
	v_add_u32_e32 v16, 0xc6, v29
	s_mov_b32 s0, 0xa57f
	v_mul_u32_u24_sdwa v8, v16, s0 dst_sel:DWORD dst_unused:UNUSED_PAD src0_sel:WORD_0 src1_sel:DWORD
	v_lshrrev_b32_e32 v8, 22, v8
	s_waitcnt lgkmcnt(0)
	s_barrier
	global_load_dwordx4 v[21:24], v[10:11], off offset:720
	v_mul_lo_u16_e32 v8, 0x63, v8
	v_sub_u16_e32 v8, v16, v8
	v_lshlrev_b32_e32 v25, 4, v8
	global_load_dwordx4 v[25:28], v25, s[8:9] offset:720
	ds_read2_b32 v[31:32], v17 offset0:41 offset1:140
	ds_read_b32 v39, v14
	ds_read2_b32 v[33:34], v18 offset0:111 offset1:210
	ds_read2_b32 v[35:36], v15 offset0:99 offset1:198
	;; [unrolled: 1-line block ×3, first 2 shown]
	s_waitcnt vmcnt(0) lgkmcnt(0)
	s_barrier
	v_mul_f32_e32 v40, v31, v22
	v_mul_f32_e32 v42, v34, v24
	;; [unrolled: 1-line block ×6, first 2 shown]
	v_fma_f32 v12, v12, v21, -v40
	v_fma_f32 v5, v5, v23, -v42
	v_mul_f32_e32 v45, v37, v24
	v_mul_f32_e32 v24, v6, v24
	v_fmac_f32_e32 v22, v32, v21
	v_add_f32_e32 v32, v12, v5
	v_fmac_f32_e32 v41, v31, v21
	v_fmac_f32_e32 v43, v34, v23
	v_fma_f32 v13, v13, v21, -v44
	v_fma_f32 v6, v6, v23, -v45
	v_fmac_f32_e32 v24, v37, v23
	v_mul_f32_e32 v21, v33, v26
	v_mul_f32_e32 v23, v4, v26
	v_add_f32_e32 v31, v20, v12
	v_fmac_f32_e32 v20, -0.5, v32
	v_mul_f32_e32 v26, v38, v28
	v_sub_f32_e32 v34, v41, v43
	v_add_f32_e32 v42, v13, v6
	v_fma_f32 v4, v4, v25, -v21
	v_fmac_f32_e32 v23, v33, v25
	v_mov_b32_e32 v25, v20
	v_mul_f32_e32 v28, v7, v28
	v_add_f32_e32 v37, v39, v41
	v_add_f32_e32 v40, v41, v43
	v_sub_f32_e32 v12, v12, v5
	v_add_f32_e32 v41, v2, v13
	v_sub_f32_e32 v44, v22, v24
	v_add_f32_e32 v45, v35, v22
	v_add_f32_e32 v22, v22, v24
	v_fma_f32 v7, v7, v27, -v26
	v_add_f32_e32 v5, v31, v5
	v_fma_f32 v2, -0.5, v42, v2
	v_fmac_f32_e32 v25, 0x3f5db3d7, v34
	v_sub_f32_e32 v13, v13, v6
	v_fmac_f32_e32 v28, v38, v27
	v_add_f32_e32 v6, v41, v6
	v_fma_f32 v22, -0.5, v22, v35
	v_fmac_f32_e32 v20, 0xbf5db3d7, v34
	v_mov_b32_e32 v27, v2
	v_fmac_f32_e32 v2, 0xbf5db3d7, v44
	v_add_f32_e32 v33, v4, v7
	ds_write2_b32 v15, v5, v25 offset1:99
	v_add_u32_e32 v25, 0x200, v15
	v_add_f32_e32 v21, v37, v43
	v_fmac_f32_e32 v39, -0.5, v40
	v_mov_b32_e32 v31, v22
	v_add_f32_e32 v32, v3, v4
	v_sub_f32_e32 v35, v23, v28
	v_add_f32_e32 v37, v36, v23
	v_add_f32_e32 v23, v23, v28
	v_fmac_f32_e32 v27, 0x3f5db3d7, v44
	v_fmac_f32_e32 v3, -0.5, v33
	ds_write2_b32 v25, v20, v6 offset0:70 offset1:169
	ds_write2_b32 v17, v27, v2 offset0:140 offset1:239
	v_lshlrev_b32_e32 v2, 2, v8
	v_mov_b32_e32 v26, v39
	v_fmac_f32_e32 v22, 0x3f5db3d7, v13
	v_fmac_f32_e32 v31, 0xbf5db3d7, v13
	v_mov_b32_e32 v13, v3
	v_fmac_f32_e32 v36, -0.5, v23
	v_add3_u32 v8, 0, v2, v30
	v_fmac_f32_e32 v39, 0x3f5db3d7, v12
	v_fmac_f32_e32 v26, 0xbf5db3d7, v12
	v_add_f32_e32 v12, v32, v7
	v_fmac_f32_e32 v3, 0xbf5db3d7, v35
	v_fmac_f32_e32 v13, 0x3f5db3d7, v35
	v_sub_f32_e32 v4, v4, v7
	v_mov_b32_e32 v23, v36
	v_add_u32_e32 v27, 0x800, v8
	v_fmac_f32_e32 v23, 0xbf5db3d7, v4
	v_fmac_f32_e32 v36, 0x3f5db3d7, v4
	ds_write2_b32 v27, v12, v13 offset0:82 offset1:181
	ds_write_b32 v8, v3 offset:3168
	s_waitcnt lgkmcnt(0)
	s_barrier
	ds_read_b32 v20, v14
	ds_read2_b32 v[4:5], v17 offset0:41 offset1:140
	ds_read2_b32 v[12:13], v18 offset0:111 offset1:210
	;; [unrolled: 1-line block ×4, first 2 shown]
	v_add_f32_e32 v24, v45, v24
	v_add_f32_e32 v28, v37, v28
	s_waitcnt lgkmcnt(0)
	s_barrier
	ds_write2_b32 v15, v21, v26 offset1:99
	ds_write2_b32 v25, v39, v24 offset0:70 offset1:169
	ds_write2_b32 v17, v31, v22 offset0:140 offset1:239
	;; [unrolled: 1-line block ×3, first 2 shown]
	ds_write_b32 v8, v36 offset:3168
	s_waitcnt lgkmcnt(0)
	s_barrier
	s_and_saveexec_b64 s[0:1], vcc
	s_cbranch_execz .LBB0_21
; %bb.20:
	v_lshlrev_b32_e32 v8, 1, v16
	v_lshlrev_b64 v[17:18], 3, v[8:9]
	v_add_u32_e32 v34, 0x63, v29
	v_lshlrev_b32_e32 v8, 1, v34
	v_mov_b32_e32 v19, s9
	v_add_co_u32_e32 v17, vcc, s8, v17
	v_lshlrev_b64 v[8:9], 3, v[8:9]
	v_addc_co_u32_e32 v18, vcc, v19, v18, vcc
	v_add_co_u32_e32 v8, vcc, s8, v8
	v_addc_co_u32_e32 v9, vcc, v19, v9, vcc
	global_load_dwordx4 v[21:24], v[17:18], off offset:2304
	global_load_dwordx4 v[25:28], v[10:11], off offset:2304
	v_add_u32_e32 v32, 0xa00, v15
	global_load_dwordx4 v[8:11], v[8:9], off offset:2304
	v_add_u32_e32 v19, 0x600, v15
	ds_read2_b32 v[17:18], v15 offset0:99 offset1:198
	ds_read2_b32 v[30:31], v19 offset0:111 offset1:210
	;; [unrolled: 1-line block ×3, first 2 shown]
	v_add_u32_e32 v15, 0x400, v15
	ds_read_b32 v19, v14
	ds_read2_b32 v[14:15], v15 offset0:41 offset1:140
	s_movk_i32 s4, 0x252
	s_waitcnt vmcnt(2) lgkmcnt(3)
	v_mul_f32_e32 v35, v30, v22
	s_waitcnt lgkmcnt(2)
	v_mul_f32_e32 v36, v33, v24
	v_mul_f32_e32 v22, v12, v22
	;; [unrolled: 1-line block ×3, first 2 shown]
	s_waitcnt vmcnt(1) lgkmcnt(0)
	v_mul_f32_e32 v37, v14, v26
	v_mul_f32_e32 v38, v31, v28
	;; [unrolled: 1-line block ×3, first 2 shown]
	v_fma_f32 v12, v12, v21, -v35
	v_fma_f32 v7, v7, v23, -v36
	v_fmac_f32_e32 v22, v21, v30
	v_fmac_f32_e32 v24, v23, v33
	s_waitcnt vmcnt(0)
	v_mul_f32_e32 v21, v15, v9
	v_mul_f32_e32 v23, v32, v11
	;; [unrolled: 1-line block ×5, first 2 shown]
	v_fma_f32 v35, v13, v27, -v38
	v_fmac_f32_e32 v26, v25, v14
	v_add_f32_e32 v11, v22, v18
	v_add_f32_e32 v13, v12, v7
	v_fma_f32 v14, v5, v8, -v21
	v_fma_f32 v21, v6, v10, -v23
	v_fmac_f32_e32 v9, v8, v15
	v_fmac_f32_e32 v30, v10, v32
	v_fma_f32 v33, v4, v25, -v37
	v_sub_f32_e32 v25, v12, v7
	v_add_f32_e32 v4, v22, v24
	v_add_f32_e32 v12, v3, v12
	;; [unrolled: 1-line block ×3, first 2 shown]
	v_fma_f32 v3, -0.5, v13, v3
	v_add_f32_e32 v11, v9, v30
	v_add_f32_e32 v13, v14, v21
	v_fmac_f32_e32 v28, v27, v31
	v_sub_f32_e32 v22, v22, v24
	v_fma_f32 v4, -0.5, v4, v18
	v_add_f32_e32 v5, v12, v7
	v_sub_f32_e32 v24, v9, v30
	v_add_f32_e32 v18, v9, v17
	v_add_f32_e32 v31, v2, v14
	v_mov_b32_e32 v9, v3
	v_fma_f32 v12, -0.5, v11, v17
	v_fma_f32 v11, -0.5, v13, v2
	v_sub_f32_e32 v23, v14, v21
	v_fmac_f32_e32 v3, 0x3f5db3d7, v22
	v_add_f32_e32 v13, v31, v21
	v_fmac_f32_e32 v9, 0xbf5db3d7, v22
	v_mov_b32_e32 v22, v12
	v_mov_b32_e32 v21, v11
	v_add_f32_e32 v8, v26, v28
	v_fmac_f32_e32 v12, 0xbf5db3d7, v23
	v_fmac_f32_e32 v11, 0x3f5db3d7, v24
	;; [unrolled: 1-line block ×4, first 2 shown]
	v_mad_u64_u32 v[23:24], s[0:1], s2, v29, 0
	v_fma_f32 v8, -0.5, v8, v19
	v_sub_f32_e32 v15, v33, v35
	v_add_f32_e32 v14, v30, v18
	v_mov_b32_e32 v18, v8
	v_add_f32_e32 v10, v33, v35
	v_fmac_f32_e32 v18, 0x3f5db3d7, v15
	v_fmac_f32_e32 v8, 0xbf5db3d7, v15
	v_add_f32_e32 v15, v26, v19
	v_sub_f32_e32 v27, v26, v28
	v_fma_f32 v7, -0.5, v10, v20
	v_mov_b32_e32 v10, v4
	v_mov_b32_e32 v2, v24
	v_add_f32_e32 v26, v28, v15
	v_add_u32_e32 v15, 0x129, v29
	v_fmac_f32_e32 v4, 0xbf5db3d7, v25
	v_fmac_f32_e32 v10, 0x3f5db3d7, v25
	v_mad_u64_u32 v[24:25], s[0:1], s3, v29, v[2:3]
	v_add_f32_e32 v2, v20, v33
	v_mad_u64_u32 v[19:20], s[0:1], s2, v15, 0
	v_add_f32_e32 v25, v2, v35
	v_mov_b32_e32 v2, s13
	v_add_co_u32_e32 v30, vcc, s12, v0
	v_addc_co_u32_e32 v31, vcc, v2, v1, vcc
	v_mov_b32_e32 v2, v20
	v_lshlrev_b64 v[0:1], 3, v[23:24]
	v_mad_u64_u32 v[23:24], s[0:1], s3, v15, v[2:3]
	v_add_co_u32_e32 v0, vcc, v30, v0
	v_mov_b32_e32 v17, v7
	v_addc_co_u32_e32 v1, vcc, v31, v1, vcc
	v_add_u32_e32 v15, 0x252, v29
	v_mov_b32_e32 v20, v23
	v_fmac_f32_e32 v17, 0xbf5db3d7, v27
	v_fmac_f32_e32 v7, 0x3f5db3d7, v27
	v_mad_u64_u32 v[27:28], s[0:1], s2, v15, 0
	global_store_dwordx2 v[0:1], v[25:26], off
	v_lshlrev_b64 v[0:1], 3, v[19:20]
	v_mov_b32_e32 v2, v28
	v_add_co_u32_e32 v0, vcc, v30, v0
	v_addc_co_u32_e32 v1, vcc, v31, v1, vcc
	global_store_dwordx2 v[0:1], v[7:8], off
	v_mad_u64_u32 v[7:8], s[0:1], s2, v34, 0
	v_mad_u64_u32 v[19:20], s[0:1], s3, v15, v[2:3]
	v_mov_b32_e32 v2, v8
	v_add_u32_e32 v15, 0x18c, v29
	v_mov_b32_e32 v28, v19
	v_mad_u64_u32 v[19:20], s[0:1], s3, v34, v[2:3]
	v_lshlrev_b64 v[0:1], 3, v[27:28]
	v_mad_u64_u32 v[23:24], s[0:1], s2, v15, 0
	v_add_co_u32_e32 v0, vcc, v30, v0
	v_addc_co_u32_e32 v1, vcc, v31, v1, vcc
	v_mov_b32_e32 v8, v19
	global_store_dwordx2 v[0:1], v[17:18], off
	v_lshlrev_b64 v[0:1], 3, v[7:8]
	v_mov_b32_e32 v2, v24
	v_mad_u64_u32 v[7:8], s[0:1], s3, v15, v[2:3]
	v_add_co_u32_e32 v0, vcc, v30, v0
	v_addc_co_u32_e32 v1, vcc, v31, v1, vcc
	global_store_dwordx2 v[0:1], v[13:14], off
	v_add_u32_e32 v13, 0x2b5, v29
	v_mov_b32_e32 v24, v7
	v_mad_u64_u32 v[7:8], s[0:1], s2, v13, 0
	s_mov_b32 s0, 0xdca8f159
	v_mul_hi_u32 v15, v16, s0
	v_mov_b32_e32 v2, v8
	v_mad_u64_u32 v[13:14], s[0:1], s3, v13, v[2:3]
	v_lshrrev_b32_e32 v2, 8, v15
	v_mad_u32_u24 v16, v2, s4, v16
	v_mad_u64_u32 v[14:15], s[0:1], s2, v16, 0
	v_lshlrev_b64 v[0:1], 3, v[23:24]
	v_mov_b32_e32 v8, v13
	v_add_co_u32_e32 v0, vcc, v30, v0
	v_addc_co_u32_e32 v1, vcc, v31, v1, vcc
	v_mov_b32_e32 v2, v15
	global_store_dwordx2 v[0:1], v[11:12], off
	v_lshlrev_b64 v[0:1], 3, v[7:8]
	v_mad_u64_u32 v[7:8], s[0:1], s3, v16, v[2:3]
	v_add_u32_e32 v11, 0x129, v16
	v_add_co_u32_e32 v0, vcc, v30, v0
	v_mov_b32_e32 v15, v7
	v_mad_u64_u32 v[7:8], s[0:1], s2, v11, 0
	v_addc_co_u32_e32 v1, vcc, v31, v1, vcc
	v_mov_b32_e32 v2, v8
	global_store_dwordx2 v[0:1], v[21:22], off
	v_lshlrev_b64 v[0:1], 3, v[14:15]
	v_mad_u64_u32 v[11:12], s[0:1], s3, v11, v[2:3]
	v_add_u32_e32 v14, 0x252, v16
	v_mad_u64_u32 v[12:13], s[0:1], s2, v14, 0
	v_add_co_u32_e32 v0, vcc, v30, v0
	v_addc_co_u32_e32 v1, vcc, v31, v1, vcc
	v_mov_b32_e32 v2, v13
	global_store_dwordx2 v[0:1], v[5:6], off
	v_mov_b32_e32 v8, v11
	v_mad_u64_u32 v[5:6], s[0:1], s3, v14, v[2:3]
	v_lshlrev_b64 v[0:1], 3, v[7:8]
	v_add_co_u32_e32 v0, vcc, v30, v0
	v_addc_co_u32_e32 v1, vcc, v31, v1, vcc
	v_mov_b32_e32 v13, v5
	global_store_dwordx2 v[0:1], v[3:4], off
	v_lshlrev_b64 v[0:1], 3, v[12:13]
	v_add_co_u32_e32 v0, vcc, v30, v0
	v_addc_co_u32_e32 v1, vcc, v31, v1, vcc
	global_store_dwordx2 v[0:1], v[9:10], off
.LBB0_21:
	s_endpgm
	.section	.rodata,"a",@progbits
	.p2align	6, 0x0
	.amdhsa_kernel fft_rtc_fwd_len891_factors_9_11_3_3_wgs_198_tpt_99_halfLds_sp_ip_CI_sbrr_dirReg
		.amdhsa_group_segment_fixed_size 0
		.amdhsa_private_segment_fixed_size 0
		.amdhsa_kernarg_size 88
		.amdhsa_user_sgpr_count 6
		.amdhsa_user_sgpr_private_segment_buffer 1
		.amdhsa_user_sgpr_dispatch_ptr 0
		.amdhsa_user_sgpr_queue_ptr 0
		.amdhsa_user_sgpr_kernarg_segment_ptr 1
		.amdhsa_user_sgpr_dispatch_id 0
		.amdhsa_user_sgpr_flat_scratch_init 0
		.amdhsa_user_sgpr_private_segment_size 0
		.amdhsa_uses_dynamic_stack 0
		.amdhsa_system_sgpr_private_segment_wavefront_offset 0
		.amdhsa_system_sgpr_workgroup_id_x 1
		.amdhsa_system_sgpr_workgroup_id_y 0
		.amdhsa_system_sgpr_workgroup_id_z 0
		.amdhsa_system_sgpr_workgroup_info 0
		.amdhsa_system_vgpr_workitem_id 0
		.amdhsa_next_free_vgpr 62
		.amdhsa_next_free_sgpr 24
		.amdhsa_reserve_vcc 1
		.amdhsa_reserve_flat_scratch 0
		.amdhsa_float_round_mode_32 0
		.amdhsa_float_round_mode_16_64 0
		.amdhsa_float_denorm_mode_32 3
		.amdhsa_float_denorm_mode_16_64 3
		.amdhsa_dx10_clamp 1
		.amdhsa_ieee_mode 1
		.amdhsa_fp16_overflow 0
		.amdhsa_exception_fp_ieee_invalid_op 0
		.amdhsa_exception_fp_denorm_src 0
		.amdhsa_exception_fp_ieee_div_zero 0
		.amdhsa_exception_fp_ieee_overflow 0
		.amdhsa_exception_fp_ieee_underflow 0
		.amdhsa_exception_fp_ieee_inexact 0
		.amdhsa_exception_int_div_zero 0
	.end_amdhsa_kernel
	.text
.Lfunc_end0:
	.size	fft_rtc_fwd_len891_factors_9_11_3_3_wgs_198_tpt_99_halfLds_sp_ip_CI_sbrr_dirReg, .Lfunc_end0-fft_rtc_fwd_len891_factors_9_11_3_3_wgs_198_tpt_99_halfLds_sp_ip_CI_sbrr_dirReg
                                        ; -- End function
	.section	.AMDGPU.csdata,"",@progbits
; Kernel info:
; codeLenInByte = 7036
; NumSgprs: 28
; NumVgprs: 62
; ScratchSize: 0
; MemoryBound: 0
; FloatMode: 240
; IeeeMode: 1
; LDSByteSize: 0 bytes/workgroup (compile time only)
; SGPRBlocks: 3
; VGPRBlocks: 15
; NumSGPRsForWavesPerEU: 28
; NumVGPRsForWavesPerEU: 62
; Occupancy: 4
; WaveLimiterHint : 1
; COMPUTE_PGM_RSRC2:SCRATCH_EN: 0
; COMPUTE_PGM_RSRC2:USER_SGPR: 6
; COMPUTE_PGM_RSRC2:TRAP_HANDLER: 0
; COMPUTE_PGM_RSRC2:TGID_X_EN: 1
; COMPUTE_PGM_RSRC2:TGID_Y_EN: 0
; COMPUTE_PGM_RSRC2:TGID_Z_EN: 0
; COMPUTE_PGM_RSRC2:TIDIG_COMP_CNT: 0
	.type	__hip_cuid_68349ca8635ef19f,@object ; @__hip_cuid_68349ca8635ef19f
	.section	.bss,"aw",@nobits
	.globl	__hip_cuid_68349ca8635ef19f
__hip_cuid_68349ca8635ef19f:
	.byte	0                               ; 0x0
	.size	__hip_cuid_68349ca8635ef19f, 1

	.ident	"AMD clang version 19.0.0git (https://github.com/RadeonOpenCompute/llvm-project roc-6.4.0 25133 c7fe45cf4b819c5991fe208aaa96edf142730f1d)"
	.section	".note.GNU-stack","",@progbits
	.addrsig
	.addrsig_sym __hip_cuid_68349ca8635ef19f
	.amdgpu_metadata
---
amdhsa.kernels:
  - .args:
      - .actual_access:  read_only
        .address_space:  global
        .offset:         0
        .size:           8
        .value_kind:     global_buffer
      - .offset:         8
        .size:           8
        .value_kind:     by_value
      - .actual_access:  read_only
        .address_space:  global
        .offset:         16
        .size:           8
        .value_kind:     global_buffer
      - .actual_access:  read_only
        .address_space:  global
        .offset:         24
        .size:           8
        .value_kind:     global_buffer
      - .offset:         32
        .size:           8
        .value_kind:     by_value
      - .actual_access:  read_only
        .address_space:  global
        .offset:         40
        .size:           8
        .value_kind:     global_buffer
      - .actual_access:  read_only
        .address_space:  global
        .offset:         48
        .size:           8
        .value_kind:     global_buffer
      - .offset:         56
        .size:           4
        .value_kind:     by_value
      - .actual_access:  read_only
        .address_space:  global
        .offset:         64
        .size:           8
        .value_kind:     global_buffer
      - .actual_access:  read_only
        .address_space:  global
        .offset:         72
        .size:           8
        .value_kind:     global_buffer
      - .address_space:  global
        .offset:         80
        .size:           8
        .value_kind:     global_buffer
    .group_segment_fixed_size: 0
    .kernarg_segment_align: 8
    .kernarg_segment_size: 88
    .language:       OpenCL C
    .language_version:
      - 2
      - 0
    .max_flat_workgroup_size: 198
    .name:           fft_rtc_fwd_len891_factors_9_11_3_3_wgs_198_tpt_99_halfLds_sp_ip_CI_sbrr_dirReg
    .private_segment_fixed_size: 0
    .sgpr_count:     28
    .sgpr_spill_count: 0
    .symbol:         fft_rtc_fwd_len891_factors_9_11_3_3_wgs_198_tpt_99_halfLds_sp_ip_CI_sbrr_dirReg.kd
    .uniform_work_group_size: 1
    .uses_dynamic_stack: false
    .vgpr_count:     62
    .vgpr_spill_count: 0
    .wavefront_size: 64
amdhsa.target:   amdgcn-amd-amdhsa--gfx906
amdhsa.version:
  - 1
  - 2
...

	.end_amdgpu_metadata
